;; amdgpu-corpus repo=ROCm/rocFFT kind=compiled arch=gfx1030 opt=O3
	.text
	.amdgcn_target "amdgcn-amd-amdhsa--gfx1030"
	.amdhsa_code_object_version 6
	.protected	fft_rtc_back_len1040_factors_13_16_5_wgs_208_tpt_208_halfLds_dp_ip_CI_unitstride_sbrr_R2C_dirReg ; -- Begin function fft_rtc_back_len1040_factors_13_16_5_wgs_208_tpt_208_halfLds_dp_ip_CI_unitstride_sbrr_R2C_dirReg
	.globl	fft_rtc_back_len1040_factors_13_16_5_wgs_208_tpt_208_halfLds_dp_ip_CI_unitstride_sbrr_R2C_dirReg
	.p2align	8
	.type	fft_rtc_back_len1040_factors_13_16_5_wgs_208_tpt_208_halfLds_dp_ip_CI_unitstride_sbrr_R2C_dirReg,@function
fft_rtc_back_len1040_factors_13_16_5_wgs_208_tpt_208_halfLds_dp_ip_CI_unitstride_sbrr_R2C_dirReg: ; @fft_rtc_back_len1040_factors_13_16_5_wgs_208_tpt_208_halfLds_dp_ip_CI_unitstride_sbrr_R2C_dirReg
; %bb.0:
	s_clause 0x2
	s_load_dwordx4 s[8:11], s[4:5], 0x0
	s_load_dwordx2 s[2:3], s[4:5], 0x50
	s_load_dwordx2 s[12:13], s[4:5], 0x18
	v_mul_u32_u24_e32 v1, 0x13c, v0
	v_mov_b32_e32 v3, 0
	v_add_nc_u32_sdwa v5, s6, v1 dst_sel:DWORD dst_unused:UNUSED_PAD src0_sel:DWORD src1_sel:WORD_1
	v_mov_b32_e32 v1, 0
	v_mov_b32_e32 v6, v3
	v_mov_b32_e32 v2, 0
	s_waitcnt lgkmcnt(0)
	v_cmp_lt_u64_e64 s0, s[10:11], 2
	s_and_b32 vcc_lo, exec_lo, s0
	s_cbranch_vccnz .LBB0_8
; %bb.1:
	s_load_dwordx2 s[0:1], s[4:5], 0x10
	v_mov_b32_e32 v1, 0
	s_add_u32 s6, s12, 8
	v_mov_b32_e32 v2, 0
	s_addc_u32 s7, s13, 0
	s_mov_b64 s[16:17], 1
	s_waitcnt lgkmcnt(0)
	s_add_u32 s14, s0, 8
	s_addc_u32 s15, s1, 0
.LBB0_2:                                ; =>This Inner Loop Header: Depth=1
	s_load_dwordx2 s[18:19], s[14:15], 0x0
                                        ; implicit-def: $vgpr7_vgpr8
	s_mov_b32 s0, exec_lo
	s_waitcnt lgkmcnt(0)
	v_or_b32_e32 v4, s19, v6
	v_cmpx_ne_u64_e32 0, v[3:4]
	s_xor_b32 s1, exec_lo, s0
	s_cbranch_execz .LBB0_4
; %bb.3:                                ;   in Loop: Header=BB0_2 Depth=1
	v_cvt_f32_u32_e32 v4, s18
	v_cvt_f32_u32_e32 v7, s19
	s_sub_u32 s0, 0, s18
	s_subb_u32 s20, 0, s19
	v_fmac_f32_e32 v4, 0x4f800000, v7
	v_rcp_f32_e32 v4, v4
	v_mul_f32_e32 v4, 0x5f7ffffc, v4
	v_mul_f32_e32 v7, 0x2f800000, v4
	v_trunc_f32_e32 v7, v7
	v_fmac_f32_e32 v4, 0xcf800000, v7
	v_cvt_u32_f32_e32 v7, v7
	v_cvt_u32_f32_e32 v4, v4
	v_mul_lo_u32 v8, s0, v7
	v_mul_hi_u32 v9, s0, v4
	v_mul_lo_u32 v10, s20, v4
	v_add_nc_u32_e32 v8, v9, v8
	v_mul_lo_u32 v9, s0, v4
	v_add_nc_u32_e32 v8, v8, v10
	v_mul_hi_u32 v10, v4, v9
	v_mul_lo_u32 v11, v4, v8
	v_mul_hi_u32 v12, v4, v8
	v_mul_hi_u32 v13, v7, v9
	v_mul_lo_u32 v9, v7, v9
	v_mul_hi_u32 v14, v7, v8
	v_mul_lo_u32 v8, v7, v8
	v_add_co_u32 v10, vcc_lo, v10, v11
	v_add_co_ci_u32_e32 v11, vcc_lo, 0, v12, vcc_lo
	v_add_co_u32 v9, vcc_lo, v10, v9
	v_add_co_ci_u32_e32 v9, vcc_lo, v11, v13, vcc_lo
	v_add_co_ci_u32_e32 v10, vcc_lo, 0, v14, vcc_lo
	v_add_co_u32 v8, vcc_lo, v9, v8
	v_add_co_ci_u32_e32 v9, vcc_lo, 0, v10, vcc_lo
	v_add_co_u32 v4, vcc_lo, v4, v8
	v_add_co_ci_u32_e32 v7, vcc_lo, v7, v9, vcc_lo
	v_mul_hi_u32 v8, s0, v4
	v_mul_lo_u32 v10, s20, v4
	v_mul_lo_u32 v9, s0, v7
	v_add_nc_u32_e32 v8, v8, v9
	v_mul_lo_u32 v9, s0, v4
	v_add_nc_u32_e32 v8, v8, v10
	v_mul_hi_u32 v10, v4, v9
	v_mul_lo_u32 v11, v4, v8
	v_mul_hi_u32 v12, v4, v8
	v_mul_hi_u32 v13, v7, v9
	v_mul_lo_u32 v9, v7, v9
	v_mul_hi_u32 v14, v7, v8
	v_mul_lo_u32 v8, v7, v8
	v_add_co_u32 v10, vcc_lo, v10, v11
	v_add_co_ci_u32_e32 v11, vcc_lo, 0, v12, vcc_lo
	v_add_co_u32 v9, vcc_lo, v10, v9
	v_add_co_ci_u32_e32 v9, vcc_lo, v11, v13, vcc_lo
	v_add_co_ci_u32_e32 v10, vcc_lo, 0, v14, vcc_lo
	v_add_co_u32 v8, vcc_lo, v9, v8
	v_add_co_ci_u32_e32 v9, vcc_lo, 0, v10, vcc_lo
	v_add_co_u32 v4, vcc_lo, v4, v8
	v_add_co_ci_u32_e32 v11, vcc_lo, v7, v9, vcc_lo
	v_mul_hi_u32 v13, v5, v4
	v_mad_u64_u32 v[9:10], null, v6, v4, 0
	v_mad_u64_u32 v[7:8], null, v5, v11, 0
	;; [unrolled: 1-line block ×3, first 2 shown]
	v_add_co_u32 v4, vcc_lo, v13, v7
	v_add_co_ci_u32_e32 v7, vcc_lo, 0, v8, vcc_lo
	v_add_co_u32 v4, vcc_lo, v4, v9
	v_add_co_ci_u32_e32 v4, vcc_lo, v7, v10, vcc_lo
	v_add_co_ci_u32_e32 v7, vcc_lo, 0, v12, vcc_lo
	v_add_co_u32 v4, vcc_lo, v4, v11
	v_add_co_ci_u32_e32 v9, vcc_lo, 0, v7, vcc_lo
	v_mul_lo_u32 v10, s19, v4
	v_mad_u64_u32 v[7:8], null, s18, v4, 0
	v_mul_lo_u32 v11, s18, v9
	v_sub_co_u32 v7, vcc_lo, v5, v7
	v_add3_u32 v8, v8, v11, v10
	v_sub_nc_u32_e32 v10, v6, v8
	v_subrev_co_ci_u32_e64 v10, s0, s19, v10, vcc_lo
	v_add_co_u32 v11, s0, v4, 2
	v_add_co_ci_u32_e64 v12, s0, 0, v9, s0
	v_sub_co_u32 v13, s0, v7, s18
	v_sub_co_ci_u32_e32 v8, vcc_lo, v6, v8, vcc_lo
	v_subrev_co_ci_u32_e64 v10, s0, 0, v10, s0
	v_cmp_le_u32_e32 vcc_lo, s18, v13
	v_cmp_eq_u32_e64 s0, s19, v8
	v_cndmask_b32_e64 v13, 0, -1, vcc_lo
	v_cmp_le_u32_e32 vcc_lo, s19, v10
	v_cndmask_b32_e64 v14, 0, -1, vcc_lo
	v_cmp_le_u32_e32 vcc_lo, s18, v7
	;; [unrolled: 2-line block ×3, first 2 shown]
	v_cndmask_b32_e64 v15, 0, -1, vcc_lo
	v_cmp_eq_u32_e32 vcc_lo, s19, v10
	v_cndmask_b32_e64 v7, v15, v7, s0
	v_cndmask_b32_e32 v10, v14, v13, vcc_lo
	v_add_co_u32 v13, vcc_lo, v4, 1
	v_add_co_ci_u32_e32 v14, vcc_lo, 0, v9, vcc_lo
	v_cmp_ne_u32_e32 vcc_lo, 0, v10
	v_cndmask_b32_e32 v8, v14, v12, vcc_lo
	v_cndmask_b32_e32 v10, v13, v11, vcc_lo
	v_cmp_ne_u32_e32 vcc_lo, 0, v7
	v_cndmask_b32_e32 v8, v9, v8, vcc_lo
	v_cndmask_b32_e32 v7, v4, v10, vcc_lo
.LBB0_4:                                ;   in Loop: Header=BB0_2 Depth=1
	s_andn2_saveexec_b32 s0, s1
	s_cbranch_execz .LBB0_6
; %bb.5:                                ;   in Loop: Header=BB0_2 Depth=1
	v_cvt_f32_u32_e32 v4, s18
	s_sub_i32 s1, 0, s18
	v_rcp_iflag_f32_e32 v4, v4
	v_mul_f32_e32 v4, 0x4f7ffffe, v4
	v_cvt_u32_f32_e32 v4, v4
	v_mul_lo_u32 v7, s1, v4
	v_mul_hi_u32 v7, v4, v7
	v_add_nc_u32_e32 v4, v4, v7
	v_mul_hi_u32 v4, v5, v4
	v_mul_lo_u32 v7, v4, s18
	v_add_nc_u32_e32 v8, 1, v4
	v_sub_nc_u32_e32 v7, v5, v7
	v_subrev_nc_u32_e32 v9, s18, v7
	v_cmp_le_u32_e32 vcc_lo, s18, v7
	v_cndmask_b32_e32 v7, v7, v9, vcc_lo
	v_cndmask_b32_e32 v4, v4, v8, vcc_lo
	v_cmp_le_u32_e32 vcc_lo, s18, v7
	v_add_nc_u32_e32 v8, 1, v4
	v_cndmask_b32_e32 v7, v4, v8, vcc_lo
	v_mov_b32_e32 v8, v3
.LBB0_6:                                ;   in Loop: Header=BB0_2 Depth=1
	s_or_b32 exec_lo, exec_lo, s0
	s_load_dwordx2 s[0:1], s[6:7], 0x0
	v_mul_lo_u32 v4, v8, s18
	v_mul_lo_u32 v11, v7, s19
	v_mad_u64_u32 v[9:10], null, v7, s18, 0
	s_add_u32 s16, s16, 1
	s_addc_u32 s17, s17, 0
	s_add_u32 s6, s6, 8
	s_addc_u32 s7, s7, 0
	;; [unrolled: 2-line block ×3, first 2 shown]
	v_add3_u32 v4, v10, v11, v4
	v_sub_co_u32 v5, vcc_lo, v5, v9
	v_sub_co_ci_u32_e32 v4, vcc_lo, v6, v4, vcc_lo
	s_waitcnt lgkmcnt(0)
	v_mul_lo_u32 v6, s1, v5
	v_mul_lo_u32 v4, s0, v4
	v_mad_u64_u32 v[1:2], null, s0, v5, v[1:2]
	v_cmp_ge_u64_e64 s0, s[16:17], s[10:11]
	s_and_b32 vcc_lo, exec_lo, s0
	v_add3_u32 v2, v6, v2, v4
	s_cbranch_vccnz .LBB0_9
; %bb.7:                                ;   in Loop: Header=BB0_2 Depth=1
	v_mov_b32_e32 v5, v7
	v_mov_b32_e32 v6, v8
	s_branch .LBB0_2
.LBB0_8:
	v_mov_b32_e32 v8, v6
	v_mov_b32_e32 v7, v5
.LBB0_9:
	s_lshl_b64 s[0:1], s[10:11], 3
	v_mul_hi_u32 v3, 0x13b13b2, v0
	s_add_u32 s0, s12, s0
	s_addc_u32 s1, s13, s1
	s_load_dwordx2 s[0:1], s[0:1], 0x0
	s_load_dwordx2 s[4:5], s[4:5], 0x20
	v_mul_u32_u24_e32 v3, 0xd0, v3
	v_sub_nc_u32_e32 v64, v0, v3
	v_lshl_add_u32 v68, v64, 4, 0
	s_waitcnt lgkmcnt(0)
	v_mul_lo_u32 v4, s0, v8
	v_mul_lo_u32 v5, s1, v7
	v_mad_u64_u32 v[1:2], null, s0, v7, v[1:2]
	v_cmp_gt_u64_e32 vcc_lo, s[4:5], v[7:8]
	v_add3_u32 v2, v5, v2, v4
	v_lshlrev_b64 v[66:67], 4, v[1:2]
	s_and_saveexec_b32 s1, vcc_lo
	s_cbranch_execz .LBB0_11
; %bb.10:
	v_mov_b32_e32 v65, 0
	v_add_co_u32 v2, s0, s2, v66
	v_add_co_ci_u32_e64 v3, s0, s3, v67, s0
	v_lshlrev_b64 v[0:1], 4, v[64:65]
	v_add_co_u32 v0, s0, v2, v0
	v_add_co_ci_u32_e64 v1, s0, v3, v1, s0
	v_add_co_u32 v4, s0, 0x800, v0
	v_add_co_ci_u32_e64 v5, s0, 0, v1, s0
	;; [unrolled: 2-line block ×5, first 2 shown]
	s_clause 0x4
	global_load_dwordx4 v[0:3], v[0:1], off
	global_load_dwordx4 v[4:7], v[4:5], off offset:1280
	global_load_dwordx4 v[8:11], v[8:9], off offset:512
	;; [unrolled: 1-line block ×4, first 2 shown]
	s_waitcnt vmcnt(4)
	ds_write_b128 v68, v[0:3]
	s_waitcnt vmcnt(3)
	ds_write_b128 v68, v[4:7] offset:3328
	s_waitcnt vmcnt(2)
	ds_write_b128 v68, v[8:11] offset:6656
	;; [unrolled: 2-line block ×4, first 2 shown]
.LBB0_11:
	s_or_b32 exec_lo, exec_lo, s1
	s_waitcnt lgkmcnt(0)
	s_barrier
	buffer_gl0_inv
	ds_read_b128 v[4:7], v68
	ds_read_b128 v[0:3], v68 offset:1280
	ds_read_b128 v[8:11], v68 offset:2560
	;; [unrolled: 1-line block ×7, first 2 shown]
	s_mov_b32 s24, 0xe00740e9
	s_mov_b32 s25, 0x3fec55a7
	;; [unrolled: 1-line block ×16, first 2 shown]
	s_waitcnt lgkmcnt(6)
	v_add_f64 v[16:17], v[4:5], v[0:1]
	v_add_f64 v[18:19], v[6:7], v[2:3]
	s_mov_b32 s5, 0xbfedeba7
	s_mov_b32 s15, 0xbfe5384d
	;; [unrolled: 1-line block ×20, first 2 shown]
	s_waitcnt lgkmcnt(5)
	v_add_f64 v[16:17], v[16:17], v[8:9]
	v_add_f64 v[18:19], v[18:19], v[10:11]
	s_waitcnt lgkmcnt(4)
	v_add_f64 v[16:17], v[16:17], v[12:13]
	v_add_f64 v[18:19], v[18:19], v[14:15]
	s_waitcnt lgkmcnt(3)
	v_add_f64 v[16:17], v[16:17], v[28:29]
	v_add_f64 v[18:19], v[18:19], v[30:31]
	s_waitcnt lgkmcnt(2)
	v_add_f64 v[16:17], v[16:17], v[24:25]
	v_add_f64 v[18:19], v[18:19], v[26:27]
	s_waitcnt lgkmcnt(1)
	v_add_f64 v[44:45], v[16:17], v[20:21]
	v_add_f64 v[46:47], v[18:19], v[22:23]
	ds_read_b128 v[36:39], v68 offset:10240
	ds_read_b128 v[40:43], v68 offset:11520
	;; [unrolled: 1-line block ×5, first 2 shown]
	s_waitcnt lgkmcnt(0)
	s_barrier
	buffer_gl0_inv
	v_add_f64 v[48:49], v[26:27], v[38:39]
	v_add_f64 v[50:51], v[30:31], v[42:43]
	v_add_f64 v[52:53], v[30:31], -v[42:43]
	v_add_f64 v[30:31], v[24:25], -v[36:37]
	v_add_f64 v[44:45], v[44:45], v[32:33]
	v_add_f64 v[46:47], v[46:47], v[34:35]
	v_add_f64 v[71:72], v[2:3], -v[60:61]
	v_add_f64 v[2:3], v[2:3], v[60:61]
	v_add_f64 v[62:63], v[44:45], v[36:37]
	;; [unrolled: 1-line block ×4, first 2 shown]
	v_add_f64 v[46:47], v[28:29], -v[40:41]
	v_add_f64 v[28:29], v[24:25], v[36:37]
	v_add_f64 v[36:37], v[26:27], -v[38:39]
	v_add_f64 v[24:25], v[20:21], v[32:33]
	v_add_f64 v[26:27], v[22:23], v[34:35]
	v_add_f64 v[20:21], v[20:21], -v[32:33]
	v_add_f64 v[22:23], v[22:23], -v[34:35]
	v_add_f64 v[32:33], v[12:13], v[16:17]
	v_add_f64 v[38:39], v[10:11], v[56:57]
	v_add_f64 v[34:35], v[14:15], -v[18:19]
	v_add_f64 v[14:15], v[14:15], v[18:19]
	v_mul_f64 v[79:80], v[2:3], s[24:25]
	v_mul_f64 v[73:74], v[71:72], s[16:17]
	;; [unrolled: 1-line block ×8, first 2 shown]
	v_add_f64 v[62:63], v[62:63], v[40:41]
	v_add_f64 v[42:43], v[69:70], v[42:43]
	;; [unrolled: 1-line block ×3, first 2 shown]
	v_add_f64 v[40:41], v[10:11], -v[56:57]
	v_add_f64 v[10:11], v[12:13], -v[16:17]
	v_add_f64 v[0:1], v[0:1], -v[58:59]
	v_add_f64 v[12:13], v[8:9], v[54:55]
	v_add_f64 v[8:9], v[8:9], -v[54:55]
	v_mul_f64 v[91:92], v[38:39], s[18:19]
	v_mul_f64 v[99:100], v[38:39], s[12:13]
	;; [unrolled: 1-line block ×5, first 2 shown]
	v_add_f64 v[16:17], v[62:63], v[16:17]
	v_add_f64 v[18:19], v[42:43], v[18:19]
	v_mul_f64 v[42:43], v[2:3], s[18:19]
	v_mul_f64 v[62:63], v[71:72], s[14:15]
	;; [unrolled: 1-line block ×7, first 2 shown]
	v_fma_f64 v[105:106], v[69:70], s[24:25], v[73:74]
	v_fma_f64 v[73:74], v[69:70], s[24:25], -v[73:74]
	v_fma_f64 v[107:108], v[69:70], s[18:19], v[75:76]
	v_fma_f64 v[75:76], v[69:70], s[18:19], -v[75:76]
	v_fma_f64 v[109:110], v[69:70], s[10:11], v[77:78]
	v_fma_f64 v[115:116], v[0:1], s[20:21], v[83:84]
	;; [unrolled: 1-line block ×5, first 2 shown]
	v_add_f64 v[16:17], v[16:17], v[54:55]
	v_add_f64 v[18:19], v[18:19], v[56:57]
	v_fma_f64 v[56:57], v[0:1], s[30:31], v[79:80]
	v_fma_f64 v[54:55], v[69:70], s[10:11], -v[77:78]
	v_fma_f64 v[77:78], v[69:70], s[12:13], v[81:82]
	v_fma_f64 v[79:80], v[0:1], s[16:17], v[79:80]
	v_fma_f64 v[81:82], v[69:70], s[12:13], -v[81:82]
	v_fma_f64 v[111:112], v[0:1], s[28:29], v[42:43]
	v_fma_f64 v[113:114], v[69:70], s[22:23], v[62:63]
	;; [unrolled: 1-line block ×3, first 2 shown]
	v_fma_f64 v[62:63], v[69:70], s[22:23], -v[62:63]
	v_fma_f64 v[119:120], v[69:70], s[38:39], v[71:72]
	v_fma_f64 v[69:70], v[69:70], s[38:39], -v[71:72]
	v_fma_f64 v[71:72], v[0:1], s[34:35], v[87:88]
	v_fma_f64 v[87:88], v[0:1], s[14:15], v[87:88]
	;; [unrolled: 1-line block ×5, first 2 shown]
	v_add_f64 v[73:74], v[4:5], v[73:74]
	v_add_f64 v[75:76], v[4:5], v[75:76]
	;; [unrolled: 1-line block ×5, first 2 shown]
	v_fma_f64 v[16:17], v[8:9], s[28:29], v[91:92]
	v_add_f64 v[56:57], v[6:7], v[56:57]
	v_add_f64 v[2:3], v[18:19], v[60:61]
	v_fma_f64 v[18:19], v[12:13], s[18:19], -v[89:90]
	v_fma_f64 v[58:59], v[8:9], s[6:7], v[91:92]
	v_fma_f64 v[60:61], v[12:13], s[12:13], v[97:98]
	;; [unrolled: 1-line block ×3, first 2 shown]
	v_fma_f64 v[91:92], v[12:13], s[12:13], -v[97:98]
	v_fma_f64 v[97:98], v[8:9], s[4:5], v[99:100]
	v_add_f64 v[99:100], v[4:5], v[105:106]
	v_add_f64 v[79:80], v[6:7], v[79:80]
	;; [unrolled: 1-line block ×19, first 2 shown]
	v_mul_f64 v[4:5], v[34:35], s[36:37]
	v_fma_f64 v[6:7], v[12:13], s[38:39], v[101:102]
	v_fma_f64 v[123:124], v[8:9], s[40:41], v[103:104]
	v_add_f64 v[16:17], v[16:17], v[56:57]
	v_mul_f64 v[56:57], v[14:15], s[38:39]
	v_add_f64 v[99:100], v[125:126], v[99:100]
	v_add_f64 v[18:19], v[18:19], v[73:74]
	v_mul_f64 v[73:74], v[52:53], s[4:5]
	v_fma_f64 v[101:102], v[12:13], s[38:39], -v[101:102]
	v_add_f64 v[58:59], v[58:59], v[79:80]
	v_mul_f64 v[79:80], v[50:51], s[12:13]
	v_fma_f64 v[103:104], v[8:9], s[36:37], v[103:104]
	v_add_f64 v[60:61], v[60:61], v[105:106]
	v_fma_f64 v[105:106], v[32:33], s[10:11], v[93:94]
	v_add_f64 v[89:90], v[89:90], v[107:108]
	v_mul_f64 v[107:108], v[34:35], s[26:27]
	v_add_f64 v[75:76], v[91:92], v[75:76]
	v_fma_f64 v[91:92], v[10:11], s[20:21], v[95:96]
	v_fma_f64 v[93:94], v[32:33], s[10:11], -v[93:94]
	v_add_f64 v[42:43], v[97:98], v[42:43]
	v_mul_f64 v[97:98], v[14:15], s[12:13]
	v_fma_f64 v[95:96], v[10:11], s[0:1], v[95:96]
	v_mul_f64 v[125:126], v[50:51], s[24:25]
	v_add_f64 v[6:7], v[6:7], v[109:110]
	v_fma_f64 v[109:110], v[32:33], s[38:39], v[4:5]
	v_add_f64 v[111:112], v[123:124], v[111:112]
	v_fma_f64 v[123:124], v[10:11], s[40:41], v[56:57]
	v_fma_f64 v[4:5], v[32:33], s[38:39], -v[4:5]
	v_fma_f64 v[56:57], v[10:11], s[36:37], v[56:57]
	v_add_f64 v[54:55], v[101:102], v[54:55]
	v_mul_f64 v[101:102], v[36:37], s[14:15]
	v_add_f64 v[83:84], v[103:104], v[83:84]
	v_mul_f64 v[103:104], v[52:53], s[34:35]
	;; [unrolled: 2-line block ×3, first 2 shown]
	v_add_f64 v[16:17], v[91:92], v[16:17]
	v_fma_f64 v[91:92], v[32:33], s[12:13], v[107:108]
	v_add_f64 v[18:19], v[93:94], v[18:19]
	v_fma_f64 v[93:94], v[10:11], s[4:5], v[97:98]
	;; [unrolled: 2-line block ×3, first 2 shown]
	v_fma_f64 v[73:74], v[44:45], s[12:13], -v[73:74]
	v_add_f64 v[60:61], v[109:110], v[60:61]
	v_fma_f64 v[109:110], v[46:47], s[26:27], v[79:80]
	v_add_f64 v[89:90], v[123:124], v[89:90]
	v_mul_f64 v[123:124], v[48:49], s[22:23]
	v_fma_f64 v[79:80], v[46:47], s[4:5], v[79:80]
	v_add_f64 v[4:5], v[4:5], v[75:76]
	v_mul_f64 v[75:76], v[52:53], s[30:31]
	v_add_f64 v[42:43], v[56:57], v[42:43]
	v_fma_f64 v[107:108], v[32:33], s[12:13], -v[107:108]
	v_fma_f64 v[97:98], v[10:11], s[26:27], v[97:98]
	v_fma_f64 v[56:57], v[44:45], s[22:23], v[103:104]
	v_fma_f64 v[103:104], v[44:45], s[22:23], -v[103:104]
	v_add_f64 v[6:7], v[91:92], v[6:7]
	v_fma_f64 v[91:92], v[46:47], s[14:15], v[105:106]
	v_add_f64 v[93:94], v[93:94], v[111:112]
	v_mul_f64 v[111:112], v[22:23], s[36:37]
	v_add_f64 v[95:96], v[95:96], v[99:100]
	v_fma_f64 v[99:100], v[28:29], s[22:23], v[101:102]
	v_add_f64 v[18:19], v[73:74], v[18:19]
	v_add_f64 v[16:17], v[109:110], v[16:17]
	v_mul_f64 v[73:74], v[26:27], s[38:39]
	v_fma_f64 v[109:110], v[30:31], s[34:35], v[123:124]
	v_add_f64 v[58:59], v[79:80], v[58:59]
	v_mul_f64 v[79:80], v[36:37], s[20:21]
	v_fma_f64 v[105:106], v[46:47], s[34:35], v[105:106]
	v_fma_f64 v[101:102], v[28:29], s[22:23], -v[101:102]
	v_fma_f64 v[123:124], v[30:31], s[14:15], v[123:124]
	v_add_f64 v[54:55], v[107:108], v[54:55]
	v_add_f64 v[56:57], v[56:57], v[60:61]
	v_fma_f64 v[60:61], v[44:45], s[24:25], v[75:76]
	v_add_f64 v[103:104], v[103:104], v[4:5]
	v_fma_f64 v[75:76], v[44:45], s[24:25], -v[75:76]
	v_mul_f64 v[107:108], v[34:35], s[30:31]
	v_add_f64 v[83:84], v[97:98], v[83:84]
	v_mul_f64 v[97:98], v[48:49], s[18:19]
	v_add_f64 v[89:90], v[91:92], v[89:90]
	;; [unrolled: 2-line block ×3, first 2 shown]
	v_fma_f64 v[99:100], v[24:25], s[38:39], v[111:112]
	v_add_f64 v[16:17], v[109:110], v[16:17]
	v_fma_f64 v[109:110], v[20:21], s[40:41], v[73:74]
	v_add_f64 v[42:43], v[105:106], v[42:43]
	v_fma_f64 v[105:106], v[28:29], s[10:11], v[79:80]
	v_fma_f64 v[79:80], v[28:29], s[10:11], -v[79:80]
	v_add_f64 v[18:19], v[101:102], v[18:19]
	v_mul_f64 v[101:102], v[36:37], s[6:7]
	v_add_f64 v[60:61], v[60:61], v[6:7]
	v_add_f64 v[58:59], v[123:124], v[58:59]
	v_fma_f64 v[123:124], v[46:47], s[30:31], v[125:126]
	v_add_f64 v[54:55], v[75:76], v[54:55]
	v_fma_f64 v[127:128], v[30:31], s[0:1], v[91:92]
	v_fma_f64 v[91:92], v[30:31], s[20:21], v[91:92]
	v_add_f64 v[4:5], v[99:100], v[95:96]
	v_mul_f64 v[95:96], v[38:39], s[22:23]
	v_add_f64 v[6:7], v[109:110], v[16:17]
	v_mul_f64 v[16:17], v[40:41], s[34:35]
	v_mul_f64 v[109:110], v[14:15], s[24:25]
	v_add_f64 v[56:57], v[105:106], v[56:57]
	v_add_f64 v[79:80], v[79:80], v[103:104]
	v_fma_f64 v[99:100], v[28:29], s[18:19], v[101:102]
	v_fma_f64 v[101:102], v[28:29], s[18:19], -v[101:102]
	v_add_f64 v[83:84], v[123:124], v[83:84]
	v_mul_f64 v[123:124], v[40:41], s[20:21]
	v_mul_f64 v[40:41], v[40:41], s[30:31]
	v_add_f64 v[89:90], v[127:128], v[89:90]
	v_add_f64 v[42:43], v[91:92], v[42:43]
	v_fma_f64 v[91:92], v[46:47], s[16:17], v[125:126]
	v_fma_f64 v[105:106], v[8:9], s[14:15], v[95:96]
	;; [unrolled: 1-line block ×3, first 2 shown]
	v_fma_f64 v[16:17], v[12:13], s[22:23], -v[16:17]
	v_add_f64 v[60:61], v[99:100], v[60:61]
	v_fma_f64 v[99:100], v[10:11], s[16:17], v[109:110]
	v_add_f64 v[54:55], v[101:102], v[54:55]
	v_fma_f64 v[101:102], v[12:13], s[10:11], v[123:124]
	;; [unrolled: 2-line block ×3, first 2 shown]
	v_add_f64 v[75:76], v[103:104], v[77:78]
	v_add_f64 v[77:78], v[105:106], v[115:116]
	v_mul_f64 v[103:104], v[52:53], s[0:1]
	v_mul_f64 v[105:106], v[50:51], s[10:11]
	v_fma_f64 v[115:116], v[30:31], s[28:29], v[97:98]
	v_fma_f64 v[97:98], v[30:31], s[6:7], v[97:98]
	v_add_f64 v[16:17], v[16:17], v[81:82]
	v_fma_f64 v[81:82], v[8:9], s[34:35], v[95:96]
	v_fma_f64 v[95:96], v[32:33], s[24:25], -v[107:108]
	v_mul_f64 v[107:108], v[38:39], s[10:11]
	v_mul_f64 v[38:39], v[38:39], s[24:25]
	v_add_f64 v[75:76], v[93:94], v[75:76]
	v_add_f64 v[77:78], v[99:100], v[77:78]
	v_fma_f64 v[93:94], v[44:45], s[10:11], v[103:104]
	v_fma_f64 v[99:100], v[46:47], s[20:21], v[105:106]
	v_add_f64 v[91:92], v[115:116], v[91:92]
	v_mul_f64 v[115:116], v[34:35], s[6:7]
	v_add_f64 v[83:84], v[97:98], v[83:84]
	v_mul_f64 v[97:98], v[48:49], s[38:39]
	v_add_f64 v[81:82], v[81:82], v[85:86]
	v_add_f64 v[16:17], v[95:96], v[16:17]
	v_fma_f64 v[85:86], v[10:11], s[30:31], v[109:110]
	v_add_f64 v[95:96], v[101:102], v[113:114]
	v_mul_f64 v[109:110], v[14:15], s[18:19]
	v_fma_f64 v[113:114], v[12:13], s[10:11], -v[123:124]
	v_fma_f64 v[123:124], v[12:13], s[24:25], v[40:41]
	v_fma_f64 v[12:13], v[12:13], s[24:25], -v[40:41]
	v_fma_f64 v[40:41], v[8:9], s[16:17], v[38:39]
	v_mul_f64 v[34:35], v[34:35], s[14:15]
	v_mul_f64 v[14:15], v[14:15], s[22:23]
	v_fma_f64 v[103:104], v[44:45], s[10:11], -v[103:104]
	v_fma_f64 v[105:106], v[46:47], s[0:1], v[105:106]
	v_add_f64 v[75:76], v[93:94], v[75:76]
	v_add_f64 v[77:78], v[99:100], v[77:78]
	v_mul_f64 v[93:94], v[36:37], s[40:41]
	v_fma_f64 v[99:100], v[8:9], s[0:1], v[107:108]
	v_fma_f64 v[101:102], v[32:33], s[18:19], v[115:116]
	;; [unrolled: 1-line block ×4, first 2 shown]
	v_mul_f64 v[38:39], v[52:53], s[40:41]
	v_add_f64 v[81:82], v[85:86], v[81:82]
	v_add_f64 v[62:63], v[113:114], v[62:63]
	;; [unrolled: 1-line block ×3, first 2 shown]
	v_mul_f64 v[123:124], v[36:37], s[30:31]
	v_add_f64 v[40:41], v[40:41], v[119:120]
	v_add_f64 v[12:13], v[12:13], v[69:70]
	v_fma_f64 v[69:70], v[32:33], s[22:23], v[34:35]
	v_fma_f64 v[119:120], v[10:11], s[34:35], v[14:15]
	v_add_f64 v[16:17], v[103:104], v[16:17]
	v_mul_f64 v[36:37], v[36:37], s[4:5]
	v_fma_f64 v[85:86], v[28:29], s[38:39], v[93:94]
	v_add_f64 v[71:72], v[99:100], v[71:72]
	v_fma_f64 v[99:100], v[30:31], s[36:37], v[97:98]
	v_add_f64 v[95:96], v[101:102], v[95:96]
	v_fma_f64 v[101:102], v[10:11], s[28:29], v[109:110]
	v_fma_f64 v[113:114], v[44:45], s[38:39], v[38:39]
	v_add_f64 v[87:88], v[107:108], v[87:88]
	v_fma_f64 v[107:108], v[32:33], s[18:19], -v[115:116]
	v_fma_f64 v[109:110], v[10:11], s[6:7], v[109:110]
	v_mul_f64 v[115:116], v[50:51], s[38:39]
	v_add_f64 v[8:9], v[8:9], v[121:122]
	v_fma_f64 v[32:33], v[32:33], s[22:23], -v[34:35]
	v_fma_f64 v[10:11], v[10:11], s[14:15], v[14:15]
	v_mul_f64 v[14:15], v[52:53], s[28:29]
	v_mul_f64 v[34:35], v[50:51], s[18:19]
	v_add_f64 v[50:51], v[105:106], v[81:82]
	v_fma_f64 v[81:82], v[28:29], s[38:39], -v[93:94]
	v_fma_f64 v[93:94], v[30:31], s[40:41], v[97:98]
	v_fma_f64 v[97:98], v[28:29], s[24:25], v[123:124]
	v_fma_f64 v[38:39], v[44:45], s[38:39], -v[38:39]
	v_add_f64 v[69:70], v[69:70], v[117:118]
	v_add_f64 v[40:41], v[119:120], v[40:41]
	;; [unrolled: 1-line block ×3, first 2 shown]
	v_mul_f64 v[85:86], v[22:23], s[30:31]
	v_add_f64 v[75:76], v[99:100], v[77:78]
	v_mul_f64 v[99:100], v[48:49], s[24:25]
	v_add_f64 v[71:72], v[101:102], v[71:72]
	v_add_f64 v[77:78], v[113:114], v[95:96]
	;; [unrolled: 1-line block ×4, first 2 shown]
	v_fma_f64 v[95:96], v[46:47], s[36:37], v[115:116]
	v_fma_f64 v[101:102], v[46:47], s[40:41], v[115:116]
	v_add_f64 v[12:13], v[32:33], v[12:13]
	v_add_f64 v[8:9], v[10:11], v[8:9]
	v_fma_f64 v[10:11], v[44:45], s[18:19], v[14:15]
	v_fma_f64 v[32:33], v[46:47], s[6:7], v[34:35]
	v_fma_f64 v[14:15], v[44:45], s[18:19], -v[14:15]
	v_fma_f64 v[34:35], v[46:47], s[28:29], v[34:35]
	v_mul_f64 v[44:45], v[48:49], s[12:13]
	v_add_f64 v[16:17], v[81:82], v[16:17]
	v_add_f64 v[81:82], v[93:94], v[50:51]
	v_mul_f64 v[50:51], v[26:27], s[24:25]
	v_mul_f64 v[93:94], v[22:23], s[14:15]
	v_fma_f64 v[46:47], v[24:25], s[38:39], -v[111:112]
	v_fma_f64 v[48:49], v[20:21], s[36:37], v[73:74]
	v_fma_f64 v[73:74], v[24:25], s[24:25], v[85:86]
	v_fma_f64 v[85:86], v[24:25], s[24:25], -v[85:86]
	v_add_f64 v[77:78], v[97:98], v[77:78]
	v_fma_f64 v[97:98], v[28:29], s[24:25], -v[123:124]
	v_add_f64 v[38:39], v[38:39], v[62:63]
	v_mul_f64 v[62:63], v[26:27], s[22:23]
	v_add_f64 v[71:72], v[95:96], v[71:72]
	v_fma_f64 v[95:96], v[30:31], s[16:17], v[99:100]
	v_add_f64 v[87:88], v[101:102], v[87:88]
	v_mul_f64 v[101:102], v[22:23], s[28:29]
	v_fma_f64 v[99:100], v[30:31], s[30:31], v[99:100]
	v_add_f64 v[10:11], v[10:11], v[69:70]
	v_add_f64 v[32:33], v[32:33], v[40:41]
	v_fma_f64 v[40:41], v[28:29], s[12:13], v[36:37]
	v_mul_f64 v[69:70], v[26:27], s[18:19]
	v_add_f64 v[12:13], v[14:15], v[12:13]
	v_fma_f64 v[14:15], v[30:31], s[26:27], v[44:45]
	v_add_f64 v[8:9], v[34:35], v[8:9]
	v_mul_f64 v[34:35], v[22:23], s[4:5]
	v_fma_f64 v[28:29], v[28:29], s[12:13], -v[36:37]
	v_mul_f64 v[36:37], v[26:27], s[12:13]
	v_fma_f64 v[30:31], v[30:31], s[4:5], v[44:45]
	v_mul_f64 v[22:23], v[22:23], s[20:21]
	v_mul_f64 v[26:27], v[26:27], s[10:11]
	v_fma_f64 v[44:45], v[20:21], s[16:17], v[50:51]
	v_fma_f64 v[50:51], v[20:21], s[30:31], v[50:51]
	v_add_f64 v[38:39], v[97:98], v[38:39]
	v_fma_f64 v[97:98], v[20:21], s[34:35], v[62:63]
	v_fma_f64 v[62:63], v[20:21], s[14:15], v[62:63]
	v_add_f64 v[71:72], v[95:96], v[71:72]
	v_fma_f64 v[95:96], v[24:25], s[22:23], v[93:94]
	v_fma_f64 v[93:94], v[24:25], s[22:23], -v[93:94]
	v_add_f64 v[87:88], v[99:100], v[87:88]
	v_fma_f64 v[99:100], v[24:25], s[18:19], v[101:102]
	v_fma_f64 v[101:102], v[24:25], s[18:19], -v[101:102]
	v_add_f64 v[103:104], v[40:41], v[10:11]
	v_fma_f64 v[10:11], v[20:21], s[6:7], v[69:70]
	v_fma_f64 v[69:70], v[20:21], s[28:29], v[69:70]
	v_add_f64 v[105:106], v[14:15], v[32:33]
	v_add_f64 v[32:33], v[73:74], v[56:57]
	v_fma_f64 v[14:15], v[24:25], s[12:13], v[34:35]
	v_add_f64 v[107:108], v[28:29], v[12:13]
	v_fma_f64 v[109:110], v[20:21], s[26:27], v[36:37]
	v_fma_f64 v[111:112], v[24:25], s[12:13], -v[34:35]
	v_fma_f64 v[36:37], v[20:21], s[4:5], v[36:37]
	v_add_f64 v[113:114], v[30:31], v[8:9]
	v_fma_f64 v[115:116], v[24:25], s[10:11], v[22:23]
	v_fma_f64 v[117:118], v[20:21], s[0:1], v[26:27]
	v_fma_f64 v[119:120], v[24:25], s[10:11], -v[22:23]
	v_fma_f64 v[121:122], v[20:21], s[20:21], v[26:27]
	v_add_f64 v[28:29], v[46:47], v[18:19]
	v_add_f64 v[30:31], v[48:49], v[58:59]
	;; [unrolled: 1-line block ×17, first 2 shown]
	s_mov_b32 s1, exec_lo
	v_add_f64 v[44:45], v[115:116], v[103:104]
	v_add_f64 v[46:47], v[117:118], v[105:106]
	;; [unrolled: 1-line block ×4, first 2 shown]
	v_cmpx_gt_u32_e32 0x50, v64
	s_cbranch_execz .LBB0_13
; %bb.12:
	v_mad_u32_u24 v52, 0xc0, v64, v68
	ds_write_b128 v52, v[0:3]
	ds_write_b128 v52, v[4:7] offset:16
	ds_write_b128 v52, v[32:35] offset:32
	;; [unrolled: 1-line block ×12, first 2 shown]
.LBB0_13:
	s_or_b32 exec_lo, exec_lo, s1
	v_cmp_gt_u32_e64 s0, 0x41, v64
	s_waitcnt lgkmcnt(0)
	s_barrier
	buffer_gl0_inv
                                        ; implicit-def: $vgpr54_vgpr55
                                        ; implicit-def: $vgpr62_vgpr63
                                        ; implicit-def: $vgpr58_vgpr59
	s_and_saveexec_b32 s1, s0
	s_cbranch_execz .LBB0_15
; %bb.14:
	ds_read_b128 v[0:3], v68
	ds_read_b128 v[4:7], v68 offset:1040
	ds_read_b128 v[32:35], v68 offset:2080
	;; [unrolled: 1-line block ×15, first 2 shown]
.LBB0_15:
	s_or_b32 exec_lo, exec_lo, s1
	s_waitcnt lgkmcnt(0)
	s_barrier
	buffer_gl0_inv
	s_and_saveexec_b32 s10, s0
	s_cbranch_execz .LBB0_17
; %bb.16:
	v_and_b32_e32 v65, 0xff, v64
	v_mov_b32_e32 v70, 15
	s_mov_b32 s0, 0x667f3bcd
	s_mov_b32 s1, 0x3fe6a09e
	s_mov_b32 s5, 0xbfe6a09e
	v_mul_lo_u16 v65, 0x4f, v65
	s_mov_b32 s4, s0
	s_mov_b32 s6, 0xcf328d46
	s_mov_b32 s7, 0x3fed906b
	s_mov_b32 s12, 0xa6aea964
	v_lshrrev_b16 v65, 10, v65
	s_mov_b32 s13, 0xbfd87de2
	s_mov_b32 s15, 0x3fd87de2
	;; [unrolled: 1-line block ×4, first 2 shown]
	v_mul_lo_u16 v69, v65, 13
	s_mov_b32 s16, s6
	v_sub_nc_u16 v69, v64, v69
	v_mul_u32_u24_sdwa v70, v69, v70 dst_sel:DWORD dst_unused:UNUSED_PAD src0_sel:BYTE_0 src1_sel:DWORD
	v_lshlrev_b32_e32 v122, 4, v70
	s_clause 0xa
	global_load_dwordx4 v[70:73], v122, s[8:9] offset:16
	global_load_dwordx4 v[74:77], v122, s[8:9] offset:144
	;; [unrolled: 1-line block ×5, first 2 shown]
	global_load_dwordx4 v[90:93], v122, s[8:9]
	global_load_dwordx4 v[94:97], v122, s[8:9] offset:160
	global_load_dwordx4 v[98:101], v122, s[8:9] offset:128
	;; [unrolled: 1-line block ×5, first 2 shown]
	s_waitcnt vmcnt(10)
	v_mul_f64 v[114:115], v[32:33], v[72:73]
	v_mul_f64 v[72:73], v[34:35], v[72:73]
	s_waitcnt vmcnt(9)
	v_mul_f64 v[116:117], v[48:49], v[76:77]
	v_mul_f64 v[76:77], v[50:51], v[76:77]
	v_fma_f64 v[114:115], v[34:35], v[70:71], -v[114:115]
	v_fma_f64 v[118:119], v[32:33], v[70:71], v[72:73]
	s_clause 0x1
	global_load_dwordx4 v[32:35], v122, s[8:9] offset:48
	global_load_dwordx4 v[70:73], v122, s[8:9] offset:176
	v_fma_f64 v[116:117], v[50:51], v[74:75], -v[116:117]
	v_fma_f64 v[120:121], v[48:49], v[74:75], v[76:77]
	s_clause 0x1
	global_load_dwordx4 v[48:51], v122, s[8:9] offset:64
	global_load_dwordx4 v[74:77], v122, s[8:9] offset:192
	s_waitcnt vmcnt(12)
	v_mul_f64 v[122:123], v[46:47], v[80:81]
	v_mul_f64 v[80:81], v[44:45], v[80:81]
	v_fma_f64 v[44:45], v[44:45], v[78:79], v[122:123]
	v_fma_f64 v[46:47], v[46:47], v[78:79], -v[80:81]
	s_waitcnt vmcnt(11)
	v_mul_f64 v[78:79], v[62:63], v[84:85]
	v_mul_f64 v[80:81], v[60:61], v[84:85]
	s_waitcnt vmcnt(10)
	v_mul_f64 v[84:85], v[20:21], v[88:89]
	v_mul_f64 v[88:89], v[22:23], v[88:89]
	v_fma_f64 v[60:61], v[60:61], v[82:83], v[78:79]
	v_fma_f64 v[62:63], v[62:63], v[82:83], -v[80:81]
	s_waitcnt vmcnt(8)
	v_mul_f64 v[78:79], v[40:41], v[96:97]
	v_mul_f64 v[80:81], v[42:43], v[96:97]
	s_waitcnt vmcnt(6)
	v_mul_f64 v[82:83], v[38:39], v[104:105]
	v_mul_f64 v[96:97], v[36:37], v[104:105]
	v_fma_f64 v[22:23], v[22:23], v[86:87], -v[84:85]
	s_waitcnt vmcnt(5)
	v_mul_f64 v[84:85], v[58:59], v[108:109]
	v_fma_f64 v[20:21], v[20:21], v[86:87], v[88:89]
	v_mul_f64 v[86:87], v[56:57], v[108:109]
	s_waitcnt vmcnt(4)
	v_mul_f64 v[88:89], v[16:17], v[112:113]
	v_fma_f64 v[42:43], v[42:43], v[94:95], -v[78:79]
	v_fma_f64 v[40:41], v[40:41], v[94:95], v[80:81]
	v_mul_f64 v[80:81], v[4:5], v[92:93]
	v_mul_f64 v[94:95], v[24:25], v[100:101]
	v_fma_f64 v[36:37], v[36:37], v[102:103], v[82:83]
	v_fma_f64 v[38:39], v[38:39], v[102:103], -v[96:97]
	v_mul_f64 v[92:93], v[6:7], v[92:93]
	v_mul_f64 v[96:97], v[26:27], v[100:101]
	v_fma_f64 v[56:57], v[56:57], v[106:107], v[84:85]
	v_mul_f64 v[84:85], v[18:19], v[112:113]
	v_fma_f64 v[58:59], v[58:59], v[106:107], -v[86:87]
	v_fma_f64 v[18:19], v[18:19], v[110:111], -v[88:89]
	v_mov_b32_e32 v102, 0xd0
	v_add_f64 v[42:43], v[22:23], -v[42:43]
	v_add_f64 v[40:41], v[20:21], -v[40:41]
	v_fma_f64 v[6:7], v[6:7], v[90:91], -v[80:81]
	v_fma_f64 v[26:27], v[26:27], v[98:99], -v[94:95]
	v_fma_f64 v[4:5], v[4:5], v[90:91], v[92:93]
	v_fma_f64 v[24:25], v[24:25], v[98:99], v[96:97]
	v_add_f64 v[56:57], v[36:37], -v[56:57]
	v_fma_f64 v[16:17], v[16:17], v[110:111], v[84:85]
	v_add_f64 v[58:59], v[38:39], -v[58:59]
	v_add_f64 v[18:19], v[2:3], -v[18:19]
	v_fma_f64 v[22:23], v[22:23], 2.0, -v[42:43]
	v_fma_f64 v[20:21], v[20:21], 2.0, -v[40:41]
	v_add_f64 v[26:27], v[6:7], -v[26:27]
	v_add_f64 v[24:25], v[4:5], -v[24:25]
	v_fma_f64 v[36:37], v[36:37], 2.0, -v[56:57]
	v_add_f64 v[16:17], v[0:1], -v[16:17]
	v_fma_f64 v[2:3], v[2:3], 2.0, -v[18:19]
	v_fma_f64 v[6:7], v[6:7], 2.0, -v[26:27]
	;; [unrolled: 1-line block ×3, first 2 shown]
	v_add_f64 v[36:37], v[20:21], -v[36:37]
	v_fma_f64 v[0:1], v[0:1], 2.0, -v[16:17]
	v_fma_f64 v[20:21], v[20:21], 2.0, -v[36:37]
	s_waitcnt vmcnt(3)
	v_mul_f64 v[104:105], v[10:11], v[34:35]
	s_waitcnt vmcnt(2)
	v_mul_f64 v[78:79], v[30:31], v[72:73]
	v_mul_f64 v[34:35], v[8:9], v[34:35]
	s_waitcnt vmcnt(1)
	v_mul_f64 v[108:109], v[14:15], v[50:51]
	s_waitcnt vmcnt(0)
	v_mul_f64 v[82:83], v[54:55], v[76:77]
	v_mul_f64 v[50:51], v[12:13], v[50:51]
	;; [unrolled: 1-line block ×4, first 2 shown]
	v_fma_f64 v[8:9], v[8:9], v[32:33], v[104:105]
	v_fma_f64 v[28:29], v[28:29], v[70:71], v[78:79]
	v_fma_f64 v[10:11], v[10:11], v[32:33], -v[34:35]
	v_fma_f64 v[12:13], v[12:13], v[48:49], v[108:109]
	v_fma_f64 v[52:53], v[52:53], v[74:75], v[82:83]
	v_fma_f64 v[14:15], v[14:15], v[48:49], -v[50:51]
	v_fma_f64 v[48:49], v[54:55], v[74:75], -v[76:77]
	;; [unrolled: 1-line block ×3, first 2 shown]
	v_add_f64 v[32:33], v[114:115], -v[116:117]
	v_add_f64 v[34:35], v[44:45], -v[60:61]
	v_add_f64 v[50:51], v[118:119], -v[120:121]
	v_add_f64 v[54:55], v[46:47], -v[62:63]
	v_add_f64 v[74:75], v[42:43], -v[56:57]
	v_add_f64 v[76:77], v[40:41], v[58:59]
	v_add_f64 v[28:29], v[8:9], -v[28:29]
	v_add_f64 v[52:53], v[12:13], -v[52:53]
	;; [unrolled: 1-line block ×4, first 2 shown]
	v_fma_f64 v[56:57], v[114:115], 2.0, -v[32:33]
	v_add_f64 v[60:61], v[32:33], -v[34:35]
	v_add_f64 v[70:71], v[50:51], v[54:55]
	v_fma_f64 v[46:47], v[46:47], 2.0, -v[54:55]
	v_fma_f64 v[42:43], v[42:43], 2.0, -v[74:75]
	;; [unrolled: 1-line block ×3, first 2 shown]
	v_add_f64 v[62:63], v[18:19], -v[28:29]
	v_fma_f64 v[8:9], v[8:9], 2.0, -v[28:29]
	v_fma_f64 v[28:29], v[44:45], 2.0, -v[34:35]
	v_add_f64 v[72:73], v[26:27], -v[52:53]
	v_fma_f64 v[12:13], v[12:13], 2.0, -v[52:53]
	v_add_f64 v[78:79], v[24:25], v[48:49]
	v_add_f64 v[80:81], v[16:17], v[30:31]
	v_fma_f64 v[10:11], v[10:11], 2.0, -v[30:31]
	v_fma_f64 v[30:31], v[118:119], 2.0, -v[50:51]
	;; [unrolled: 1-line block ×6, first 2 shown]
	v_add_f64 v[46:47], v[56:57], -v[46:47]
	v_fma_f64 v[18:19], v[18:19], 2.0, -v[62:63]
	v_fma_f64 v[44:45], v[60:61], s[0:1], v[62:63]
	v_add_f64 v[8:9], v[0:1], -v[8:9]
	v_fma_f64 v[26:27], v[26:27], 2.0, -v[72:73]
	v_add_f64 v[12:13], v[4:5], -v[12:13]
	v_fma_f64 v[24:25], v[24:25], 2.0, -v[78:79]
	v_fma_f64 v[16:17], v[16:17], 2.0, -v[80:81]
	v_add_f64 v[10:11], v[2:3], -v[10:11]
	v_add_f64 v[28:29], v[30:31], -v[28:29]
	v_fma_f64 v[48:49], v[74:75], s[0:1], v[72:73]
	v_add_f64 v[14:15], v[6:7], -v[14:15]
	v_add_f64 v[34:35], v[22:23], -v[34:35]
	v_fma_f64 v[50:51], v[76:77], s[0:1], v[78:79]
	v_fma_f64 v[52:53], v[70:71], s[0:1], v[80:81]
	v_fma_f64 v[56:57], v[56:57], 2.0, -v[46:47]
	v_fma_f64 v[54:55], v[32:33], s[4:5], v[18:19]
	v_fma_f64 v[44:45], v[70:71], s[4:5], v[44:45]
	v_fma_f64 v[0:1], v[0:1], 2.0, -v[8:9]
	v_fma_f64 v[58:59], v[42:43], s[4:5], v[26:27]
	v_fma_f64 v[4:5], v[4:5], 2.0, -v[12:13]
	v_fma_f64 v[82:83], v[40:41], s[4:5], v[24:25]
	v_fma_f64 v[84:85], v[38:39], s[4:5], v[16:17]
	v_fma_f64 v[2:3], v[2:3], 2.0, -v[10:11]
	v_fma_f64 v[30:31], v[30:31], 2.0, -v[28:29]
	v_fma_f64 v[48:49], v[76:77], s[4:5], v[48:49]
	v_add_f64 v[70:71], v[10:11], -v[28:29]
	v_add_f64 v[28:29], v[14:15], -v[36:37]
	v_fma_f64 v[6:7], v[6:7], 2.0, -v[14:15]
	v_fma_f64 v[22:23], v[22:23], 2.0, -v[34:35]
	v_add_f64 v[34:35], v[12:13], v[34:35]
	v_add_f64 v[46:47], v[8:9], v[46:47]
	v_fma_f64 v[36:37], v[74:75], s[0:1], v[50:51]
	v_fma_f64 v[50:51], v[60:61], s[0:1], v[52:53]
	;; [unrolled: 1-line block ×4, first 2 shown]
	v_add_f64 v[20:21], v[4:5], -v[20:21]
	v_fma_f64 v[40:41], v[42:43], s[0:1], v[82:83]
	v_fma_f64 v[60:61], v[32:33], s[0:1], v[84:85]
	v_add_f64 v[32:33], v[2:3], -v[56:57]
	v_add_f64 v[54:55], v[0:1], -v[30:31]
	v_fma_f64 v[56:57], v[62:63], 2.0, -v[44:45]
	v_fma_f64 v[30:31], v[72:73], 2.0, -v[48:49]
	;; [unrolled: 1-line block ×4, first 2 shown]
	v_add_f64 v[14:15], v[6:7], -v[22:23]
	v_fma_f64 v[12:13], v[12:13], 2.0, -v[34:35]
	v_fma_f64 v[72:73], v[8:9], 2.0, -v[46:47]
	;; [unrolled: 1-line block ×4, first 2 shown]
	v_fma_f64 v[8:9], v[48:49], s[6:7], v[44:45]
	v_fma_f64 v[10:11], v[28:29], s[0:1], v[70:71]
	v_fma_f64 v[74:75], v[18:19], 2.0, -v[52:53]
	v_fma_f64 v[18:19], v[34:35], s[0:1], v[46:47]
	v_fma_f64 v[76:77], v[26:27], 2.0, -v[38:39]
	v_fma_f64 v[90:91], v[4:5], 2.0, -v[20:21]
	;; [unrolled: 1-line block ×4, first 2 shown]
	v_fma_f64 v[16:17], v[36:37], s[6:7], v[50:51]
	v_fma_f64 v[24:25], v[38:39], s[14:15], v[52:53]
	v_fma_f64 v[84:85], v[2:3], 2.0, -v[32:33]
	v_fma_f64 v[26:27], v[30:31], s[12:13], v[56:57]
	v_fma_f64 v[88:89], v[0:1], 2.0, -v[54:55]
	;; [unrolled: 2-line block ×3, first 2 shown]
	v_fma_f64 v[96:97], v[40:41], s[14:15], v[60:61]
	v_fma_f64 v[92:93], v[12:13], s[4:5], v[72:73]
	;; [unrolled: 1-line block ×5, first 2 shown]
	v_add_f64 v[10:11], v[32:33], -v[20:21]
	v_add_f64 v[8:9], v[54:55], v[14:15]
	v_mul_u32_u24_sdwa v34, v65, v102 dst_sel:DWORD dst_unused:UNUSED_PAD src0_sel:WORD_0 src1_sel:DWORD
	v_fma_f64 v[4:5], v[28:29], s[0:1], v[18:19]
	v_fma_f64 v[98:99], v[76:77], s[16:17], v[74:75]
	v_or_b32_sdwa v65, v34, v69 dst_sel:DWORD dst_unused:UNUSED_PAD src0_sel:DWORD src1_sel:BYTE_0
	v_fma_f64 v[100:101], v[78:79], s[16:17], v[80:81]
	v_fma_f64 v[0:1], v[48:49], s[14:15], v[16:17]
	;; [unrolled: 1-line block ×4, first 2 shown]
	v_add_f64 v[24:25], v[88:89], -v[90:91]
	v_fma_f64 v[22:23], v[12:13], s[4:5], v[82:83]
	v_add_f64 v[26:27], v[84:85], -v[86:87]
	v_fma_f64 v[12:13], v[38:39], s[6:7], v[96:97]
	v_fma_f64 v[20:21], v[42:43], s[0:1], v[92:93]
	v_lshl_add_u32 v65, v65, 4, 0
	v_fma_f64 v[16:17], v[30:31], s[6:7], v[94:95]
	v_fma_f64 v[34:35], v[44:45], 2.0, -v[2:3]
	v_fma_f64 v[38:39], v[70:71], 2.0, -v[6:7]
	;; [unrolled: 1-line block ×5, first 2 shown]
	v_fma_f64 v[30:31], v[78:79], s[12:13], v[98:99]
	v_fma_f64 v[28:29], v[76:77], s[14:15], v[100:101]
	v_fma_f64 v[32:33], v[50:51], 2.0, -v[0:1]
	v_fma_f64 v[46:47], v[52:53], 2.0, -v[14:15]
	;; [unrolled: 1-line block ×11, first 2 shown]
	ds_write_b128 v65, v[8:11] offset:2496
	ds_write_b128 v65, v[4:7] offset:2912
	;; [unrolled: 1-line block ×9, first 2 shown]
	ds_write_b128 v65, v[56:59]
	ds_write_b128 v65, v[52:55] offset:416
	ds_write_b128 v65, v[48:51] offset:624
	ds_write_b128 v65, v[44:47] offset:1040
	ds_write_b128 v65, v[28:31] offset:1872
	ds_write_b128 v65, v[60:63] offset:208
	ds_write_b128 v65, v[0:3] offset:3120
.LBB0_17:
	s_or_b32 exec_lo, exec_lo, s10
	v_lshlrev_b32_e32 v3, 2, v64
	v_mov_b32_e32 v4, 0
	s_waitcnt lgkmcnt(0)
	s_barrier
	buffer_gl0_inv
	s_mov_b32 s5, 0x3fee6f0e
	v_lshlrev_b64 v[0:1], 4, v[3:4]
	v_add_co_u32 v2, s0, s8, v0
	v_add_co_ci_u32_e64 v3, s0, s9, v1, s0
	v_add_co_u32 v0, s0, 0x800, v2
	v_add_co_ci_u32_e64 v1, s0, 0, v3, s0
	;; [unrolled: 2-line block ×3, first 2 shown]
	s_clause 0x3
	global_load_dwordx4 v[0:3], v[0:1], off offset:1072
	global_load_dwordx4 v[5:8], v[13:14], off offset:16
	;; [unrolled: 1-line block ×4, first 2 shown]
	ds_read_b128 v[17:20], v68 offset:3328
	ds_read_b128 v[21:24], v68 offset:6656
	;; [unrolled: 1-line block ×4, first 2 shown]
	s_mov_b32 s0, 0x134454ff
	s_mov_b32 s1, 0xbfee6f0e
	;; [unrolled: 1-line block ×3, first 2 shown]
	s_waitcnt vmcnt(3) lgkmcnt(3)
	v_mul_f64 v[33:34], v[19:20], v[2:3]
	s_waitcnt vmcnt(2) lgkmcnt(2)
	v_mul_f64 v[35:36], v[23:24], v[7:8]
	;; [unrolled: 2-line block ×4, first 2 shown]
	v_mul_f64 v[7:8], v[21:22], v[7:8]
	v_mul_f64 v[11:12], v[25:26], v[11:12]
	;; [unrolled: 1-line block ×4, first 2 shown]
	v_fma_f64 v[17:18], v[17:18], v[0:1], v[33:34]
	v_fma_f64 v[21:22], v[21:22], v[5:6], v[35:36]
	;; [unrolled: 1-line block ×4, first 2 shown]
	v_fma_f64 v[5:6], v[23:24], v[5:6], -v[7:8]
	v_fma_f64 v[7:8], v[27:28], v[9:10], -v[11:12]
	;; [unrolled: 1-line block ×4, first 2 shown]
	ds_read_b128 v[0:3], v68
	s_waitcnt lgkmcnt(0)
	s_barrier
	buffer_gl0_inv
	v_add_f64 v[11:12], v[21:22], v[25:26]
	v_add_f64 v[13:14], v[17:18], v[29:30]
	v_add_f64 v[37:38], v[17:18], -v[29:30]
	v_add_f64 v[15:16], v[5:6], v[7:8]
	v_add_f64 v[27:28], v[0:1], v[17:18]
	;; [unrolled: 1-line block ×4, first 2 shown]
	v_add_f64 v[31:32], v[19:20], -v[9:10]
	v_add_f64 v[33:34], v[5:6], -v[7:8]
	;; [unrolled: 1-line block ×8, first 2 shown]
	v_fma_f64 v[11:12], v[11:12], -0.5, v[0:1]
	v_fma_f64 v[0:1], v[13:14], -0.5, v[0:1]
	v_add_f64 v[13:14], v[21:22], -v[25:26]
	v_fma_f64 v[15:16], v[15:16], -0.5, v[2:3]
	v_fma_f64 v[2:3], v[23:24], -0.5, v[2:3]
	v_add_f64 v[23:24], v[17:18], -v[21:22]
	v_add_f64 v[17:18], v[21:22], -v[17:18]
	v_add_f64 v[21:22], v[27:28], v[21:22]
	v_add_f64 v[5:6], v[35:36], v[5:6]
	;; [unrolled: 1-line block ×3, first 2 shown]
	v_fma_f64 v[27:28], v[31:32], s[0:1], v[11:12]
	v_fma_f64 v[35:36], v[33:34], s[4:5], v[0:1]
	v_fma_f64 v[0:1], v[33:34], s[0:1], v[0:1]
	v_fma_f64 v[49:50], v[37:38], s[4:5], v[15:16]
	v_fma_f64 v[11:12], v[31:32], s[4:5], v[11:12]
	v_fma_f64 v[51:52], v[13:14], s[0:1], v[2:3]
	v_fma_f64 v[2:3], v[13:14], s[4:5], v[2:3]
	v_fma_f64 v[15:16], v[37:38], s[0:1], v[15:16]
	s_mov_b32 s0, 0x4755a5e
	s_mov_b32 s1, 0xbfe2cf23
	;; [unrolled: 1-line block ×4, first 2 shown]
	v_add_f64 v[21:22], v[21:22], v[25:26]
	v_add_f64 v[5:6], v[5:6], v[7:8]
	;; [unrolled: 1-line block ×5, first 2 shown]
	v_fma_f64 v[7:8], v[33:34], s[0:1], v[27:28]
	v_fma_f64 v[25:26], v[31:32], s[0:1], v[35:36]
	;; [unrolled: 1-line block ×8, first 2 shown]
	s_mov_b32 s0, 0x372fe950
	s_mov_b32 s1, 0x3fd3c6ef
	s_mov_b32 s5, exec_lo
	v_add_f64 v[0:1], v[21:22], v[29:30]
	v_add_f64 v[2:3], v[5:6], v[9:10]
	v_fma_f64 v[5:6], v[23:24], s[0:1], v[7:8]
	v_fma_f64 v[13:14], v[17:18], s[0:1], v[25:26]
	;; [unrolled: 1-line block ×8, first 2 shown]
	s_add_u32 s1, s8, 0x4030
	s_addc_u32 s4, s9, 0
	ds_write_b128 v68, v[0:3]
	ds_write_b128 v68, v[5:8] offset:3328
	ds_write_b128 v68, v[13:16] offset:6656
	ds_write_b128 v68, v[17:20] offset:9984
	ds_write_b128 v68, v[9:12] offset:13312
	s_waitcnt lgkmcnt(0)
	s_barrier
	buffer_gl0_inv
	ds_read_b128 v[0:3], v68
	v_lshlrev_b32_e32 v5, 4, v64
                                        ; implicit-def: $vgpr7_vgpr8
	v_sub_nc_u32_e32 v9, 0, v5
                                        ; implicit-def: $vgpr5_vgpr6
	v_cmpx_ne_u32_e32 0, v64
	s_xor_b32 s5, exec_lo, s5
	s_cbranch_execz .LBB0_19
; %bb.18:
	v_mov_b32_e32 v65, v4
	v_lshlrev_b64 v[4:5], 4, v[64:65]
	v_add_co_u32 v4, s0, s1, v4
	v_add_co_ci_u32_e64 v5, s0, s4, v5, s0
	global_load_dwordx4 v[10:13], v[4:5], off
	ds_read_b128 v[4:7], v9 offset:16640
	s_waitcnt lgkmcnt(0)
	v_add_f64 v[14:15], v[0:1], -v[4:5]
	v_add_f64 v[16:17], v[2:3], v[6:7]
	v_add_f64 v[2:3], v[2:3], -v[6:7]
	v_add_f64 v[0:1], v[0:1], v[4:5]
	v_mul_f64 v[6:7], v[14:15], 0.5
	v_mul_f64 v[14:15], v[16:17], 0.5
	;; [unrolled: 1-line block ×3, first 2 shown]
	s_waitcnt vmcnt(0)
	v_mul_f64 v[4:5], v[6:7], v[12:13]
	v_fma_f64 v[16:17], v[14:15], v[12:13], v[2:3]
	v_fma_f64 v[2:3], v[14:15], v[12:13], -v[2:3]
	v_fma_f64 v[12:13], v[0:1], 0.5, v[4:5]
	v_fma_f64 v[0:1], v[0:1], 0.5, -v[4:5]
	v_fma_f64 v[16:17], -v[10:11], v[6:7], v[16:17]
	v_fma_f64 v[2:3], -v[10:11], v[6:7], v[2:3]
	ds_write_b64 v68, v[16:17] offset:8
	ds_write_b64 v9, v[2:3] offset:16648
	v_fma_f64 v[5:6], v[14:15], v[10:11], v[12:13]
	v_fma_f64 v[7:8], -v[14:15], v[10:11], v[0:1]
                                        ; implicit-def: $vgpr0_vgpr1
.LBB0_19:
	s_andn2_saveexec_b32 s0, s5
	s_cbranch_execz .LBB0_21
; %bb.20:
	s_mov_b32 s6, 0
	v_mov_b32_e32 v12, 0
	s_mov_b32 s7, s6
	v_mov_b32_e32 v4, s6
	v_mov_b32_e32 v5, s7
	s_waitcnt lgkmcnt(0)
	v_add_f64 v[7:8], v[0:1], -v[2:3]
	ds_write_b64 v68, v[4:5] offset:8
	ds_write_b64 v9, v[4:5] offset:16648
	ds_read_b64 v[10:11], v12 offset:8328
	v_add_f64 v[5:6], v[0:1], v[2:3]
	s_waitcnt lgkmcnt(0)
	v_xor_b32_e32 v11, 0x80000000, v11
	ds_write_b64 v12, v[10:11] offset:8328
.LBB0_21:
	s_or_b32 exec_lo, exec_lo, s0
	s_waitcnt lgkmcnt(0)
	v_add_nc_u32_e32 v0, 0xd0, v64
	v_mov_b32_e32 v1, 0
	s_mov_b32 s5, exec_lo
	v_lshlrev_b64 v[2:3], 4, v[0:1]
	v_add_co_u32 v2, s0, s1, v2
	v_add_co_ci_u32_e64 v3, s0, s4, v3, s0
	global_load_dwordx4 v[10:13], v[2:3], off
	ds_write_b64 v68, v[5:6]
	ds_write_b64 v9, v[7:8] offset:16640
	ds_read_b128 v[2:5], v68 offset:3328
	ds_read_b128 v[14:17], v9 offset:13312
	s_waitcnt lgkmcnt(0)
	v_add_f64 v[6:7], v[2:3], -v[14:15]
	v_add_f64 v[18:19], v[4:5], v[16:17]
	v_add_f64 v[4:5], v[4:5], -v[16:17]
	v_add_f64 v[2:3], v[2:3], v[14:15]
	v_mul_f64 v[6:7], v[6:7], 0.5
	v_mul_f64 v[16:17], v[18:19], 0.5
	;; [unrolled: 1-line block ×3, first 2 shown]
	s_waitcnt vmcnt(0)
	v_mul_f64 v[14:15], v[6:7], v[12:13]
	v_fma_f64 v[18:19], v[16:17], v[12:13], v[4:5]
	v_fma_f64 v[12:13], v[16:17], v[12:13], -v[4:5]
	v_fma_f64 v[20:21], v[2:3], 0.5, v[14:15]
	v_fma_f64 v[14:15], v[2:3], 0.5, -v[14:15]
	v_fma_f64 v[4:5], -v[10:11], v[6:7], v[18:19]
	v_fma_f64 v[12:13], -v[10:11], v[6:7], v[12:13]
	v_fma_f64 v[2:3], v[16:17], v[10:11], v[20:21]
	v_fma_f64 v[10:11], -v[16:17], v[10:11], v[14:15]
	ds_write_b128 v68, v[2:5] offset:3328
	ds_write_b128 v9, v[10:13] offset:13312
	v_cmpx_gt_u32_e32 0x68, v64
	s_cbranch_execz .LBB0_23
; %bb.22:
	v_add_nc_u32_e32 v0, 0x1a0, v64
	v_lshlrev_b64 v[0:1], 4, v[0:1]
	v_add_co_u32 v0, s0, s1, v0
	v_add_co_ci_u32_e64 v1, s0, s4, v1, s0
	global_load_dwordx4 v[0:3], v[0:1], off
	ds_read_b128 v[4:7], v68 offset:6656
	ds_read_b128 v[10:13], v9 offset:9984
	s_waitcnt lgkmcnt(0)
	v_add_f64 v[14:15], v[4:5], -v[10:11]
	v_add_f64 v[16:17], v[6:7], v[12:13]
	v_add_f64 v[6:7], v[6:7], -v[12:13]
	v_add_f64 v[4:5], v[4:5], v[10:11]
	v_mul_f64 v[12:13], v[14:15], 0.5
	v_mul_f64 v[14:15], v[16:17], 0.5
	;; [unrolled: 1-line block ×3, first 2 shown]
	s_waitcnt vmcnt(0)
	v_mul_f64 v[10:11], v[12:13], v[2:3]
	v_fma_f64 v[16:17], v[14:15], v[2:3], v[6:7]
	v_fma_f64 v[2:3], v[14:15], v[2:3], -v[6:7]
	v_fma_f64 v[6:7], v[4:5], 0.5, v[10:11]
	v_fma_f64 v[10:11], v[4:5], 0.5, -v[10:11]
	v_fma_f64 v[4:5], -v[0:1], v[12:13], v[16:17]
	v_fma_f64 v[12:13], -v[0:1], v[12:13], v[2:3]
	v_fma_f64 v[2:3], v[14:15], v[0:1], v[6:7]
	v_fma_f64 v[10:11], -v[14:15], v[0:1], v[10:11]
	ds_write_b128 v68, v[2:5] offset:6656
	ds_write_b128 v9, v[10:13] offset:9984
.LBB0_23:
	s_or_b32 exec_lo, exec_lo, s5
	s_waitcnt lgkmcnt(0)
	s_barrier
	buffer_gl0_inv
	s_and_saveexec_b32 s0, vcc_lo
	s_cbranch_execz .LBB0_26
; %bb.24:
	ds_read_b128 v[2:5], v68
	v_mov_b32_e32 v65, 0
	v_add_co_u32 v0, vcc_lo, s2, v66
	v_add_co_ci_u32_e32 v1, vcc_lo, s3, v67, vcc_lo
	v_lshlrev_b64 v[18:19], 4, v[64:65]
	ds_read_b128 v[6:9], v68 offset:3328
	ds_read_b128 v[10:13], v68 offset:6656
	;; [unrolled: 1-line block ×3, first 2 shown]
	v_add_co_u32 v22, vcc_lo, v0, v18
	v_add_co_ci_u32_e32 v23, vcc_lo, v1, v19, vcc_lo
	ds_read_b128 v[18:21], v68 offset:13312
	v_add_co_u32 v24, vcc_lo, 0x800, v22
	v_add_co_ci_u32_e32 v25, vcc_lo, 0, v23, vcc_lo
	s_waitcnt lgkmcnt(4)
	global_store_dwordx4 v[22:23], v[2:5], off
	v_add_co_u32 v2, vcc_lo, 0x1800, v22
	v_add_co_ci_u32_e32 v3, vcc_lo, 0, v23, vcc_lo
	v_add_co_u32 v4, vcc_lo, 0x2000, v22
	v_add_co_ci_u32_e32 v5, vcc_lo, 0, v23, vcc_lo
	;; [unrolled: 2-line block ×3, first 2 shown]
	v_cmp_eq_u32_e32 vcc_lo, 0xcf, v64
	s_waitcnt lgkmcnt(3)
	global_store_dwordx4 v[24:25], v[6:9], off offset:1280
	s_waitcnt lgkmcnt(2)
	global_store_dwordx4 v[2:3], v[10:13], off offset:512
	;; [unrolled: 2-line block ×4, first 2 shown]
	s_and_b32 exec_lo, exec_lo, vcc_lo
	s_cbranch_execz .LBB0_26
; %bb.25:
	ds_read_b128 v[2:5], v65 offset:16640
	v_add_co_u32 v0, vcc_lo, 0x4000, v0
	v_add_co_ci_u32_e32 v1, vcc_lo, 0, v1, vcc_lo
	s_waitcnt lgkmcnt(0)
	global_store_dwordx4 v[0:1], v[2:5], off offset:256
.LBB0_26:
	s_endpgm
	.section	.rodata,"a",@progbits
	.p2align	6, 0x0
	.amdhsa_kernel fft_rtc_back_len1040_factors_13_16_5_wgs_208_tpt_208_halfLds_dp_ip_CI_unitstride_sbrr_R2C_dirReg
		.amdhsa_group_segment_fixed_size 0
		.amdhsa_private_segment_fixed_size 0
		.amdhsa_kernarg_size 88
		.amdhsa_user_sgpr_count 6
		.amdhsa_user_sgpr_private_segment_buffer 1
		.amdhsa_user_sgpr_dispatch_ptr 0
		.amdhsa_user_sgpr_queue_ptr 0
		.amdhsa_user_sgpr_kernarg_segment_ptr 1
		.amdhsa_user_sgpr_dispatch_id 0
		.amdhsa_user_sgpr_flat_scratch_init 0
		.amdhsa_user_sgpr_private_segment_size 0
		.amdhsa_wavefront_size32 1
		.amdhsa_uses_dynamic_stack 0
		.amdhsa_system_sgpr_private_segment_wavefront_offset 0
		.amdhsa_system_sgpr_workgroup_id_x 1
		.amdhsa_system_sgpr_workgroup_id_y 0
		.amdhsa_system_sgpr_workgroup_id_z 0
		.amdhsa_system_sgpr_workgroup_info 0
		.amdhsa_system_vgpr_workitem_id 0
		.amdhsa_next_free_vgpr 129
		.amdhsa_next_free_sgpr 42
		.amdhsa_reserve_vcc 1
		.amdhsa_reserve_flat_scratch 0
		.amdhsa_float_round_mode_32 0
		.amdhsa_float_round_mode_16_64 0
		.amdhsa_float_denorm_mode_32 3
		.amdhsa_float_denorm_mode_16_64 3
		.amdhsa_dx10_clamp 1
		.amdhsa_ieee_mode 1
		.amdhsa_fp16_overflow 0
		.amdhsa_workgroup_processor_mode 1
		.amdhsa_memory_ordered 1
		.amdhsa_forward_progress 0
		.amdhsa_shared_vgpr_count 0
		.amdhsa_exception_fp_ieee_invalid_op 0
		.amdhsa_exception_fp_denorm_src 0
		.amdhsa_exception_fp_ieee_div_zero 0
		.amdhsa_exception_fp_ieee_overflow 0
		.amdhsa_exception_fp_ieee_underflow 0
		.amdhsa_exception_fp_ieee_inexact 0
		.amdhsa_exception_int_div_zero 0
	.end_amdhsa_kernel
	.text
.Lfunc_end0:
	.size	fft_rtc_back_len1040_factors_13_16_5_wgs_208_tpt_208_halfLds_dp_ip_CI_unitstride_sbrr_R2C_dirReg, .Lfunc_end0-fft_rtc_back_len1040_factors_13_16_5_wgs_208_tpt_208_halfLds_dp_ip_CI_unitstride_sbrr_R2C_dirReg
                                        ; -- End function
	.section	.AMDGPU.csdata,"",@progbits
; Kernel info:
; codeLenInByte = 9536
; NumSgprs: 44
; NumVgprs: 129
; ScratchSize: 0
; MemoryBound: 0
; FloatMode: 240
; IeeeMode: 1
; LDSByteSize: 0 bytes/workgroup (compile time only)
; SGPRBlocks: 5
; VGPRBlocks: 16
; NumSGPRsForWavesPerEU: 44
; NumVGPRsForWavesPerEU: 129
; Occupancy: 7
; WaveLimiterHint : 1
; COMPUTE_PGM_RSRC2:SCRATCH_EN: 0
; COMPUTE_PGM_RSRC2:USER_SGPR: 6
; COMPUTE_PGM_RSRC2:TRAP_HANDLER: 0
; COMPUTE_PGM_RSRC2:TGID_X_EN: 1
; COMPUTE_PGM_RSRC2:TGID_Y_EN: 0
; COMPUTE_PGM_RSRC2:TGID_Z_EN: 0
; COMPUTE_PGM_RSRC2:TIDIG_COMP_CNT: 0
	.text
	.p2alignl 6, 3214868480
	.fill 48, 4, 3214868480
	.type	__hip_cuid_95952f72daa24da9,@object ; @__hip_cuid_95952f72daa24da9
	.section	.bss,"aw",@nobits
	.globl	__hip_cuid_95952f72daa24da9
__hip_cuid_95952f72daa24da9:
	.byte	0                               ; 0x0
	.size	__hip_cuid_95952f72daa24da9, 1

	.ident	"AMD clang version 19.0.0git (https://github.com/RadeonOpenCompute/llvm-project roc-6.4.0 25133 c7fe45cf4b819c5991fe208aaa96edf142730f1d)"
	.section	".note.GNU-stack","",@progbits
	.addrsig
	.addrsig_sym __hip_cuid_95952f72daa24da9
	.amdgpu_metadata
---
amdhsa.kernels:
  - .args:
      - .actual_access:  read_only
        .address_space:  global
        .offset:         0
        .size:           8
        .value_kind:     global_buffer
      - .offset:         8
        .size:           8
        .value_kind:     by_value
      - .actual_access:  read_only
        .address_space:  global
        .offset:         16
        .size:           8
        .value_kind:     global_buffer
      - .actual_access:  read_only
        .address_space:  global
        .offset:         24
        .size:           8
        .value_kind:     global_buffer
      - .offset:         32
        .size:           8
        .value_kind:     by_value
      - .actual_access:  read_only
        .address_space:  global
        .offset:         40
        .size:           8
        .value_kind:     global_buffer
      - .actual_access:  read_only
        .address_space:  global
        .offset:         48
        .size:           8
        .value_kind:     global_buffer
      - .offset:         56
        .size:           4
        .value_kind:     by_value
      - .actual_access:  read_only
        .address_space:  global
        .offset:         64
        .size:           8
        .value_kind:     global_buffer
      - .actual_access:  read_only
        .address_space:  global
        .offset:         72
        .size:           8
        .value_kind:     global_buffer
      - .address_space:  global
        .offset:         80
        .size:           8
        .value_kind:     global_buffer
    .group_segment_fixed_size: 0
    .kernarg_segment_align: 8
    .kernarg_segment_size: 88
    .language:       OpenCL C
    .language_version:
      - 2
      - 0
    .max_flat_workgroup_size: 208
    .name:           fft_rtc_back_len1040_factors_13_16_5_wgs_208_tpt_208_halfLds_dp_ip_CI_unitstride_sbrr_R2C_dirReg
    .private_segment_fixed_size: 0
    .sgpr_count:     44
    .sgpr_spill_count: 0
    .symbol:         fft_rtc_back_len1040_factors_13_16_5_wgs_208_tpt_208_halfLds_dp_ip_CI_unitstride_sbrr_R2C_dirReg.kd
    .uniform_work_group_size: 1
    .uses_dynamic_stack: false
    .vgpr_count:     129
    .vgpr_spill_count: 0
    .wavefront_size: 32
    .workgroup_processor_mode: 1
amdhsa.target:   amdgcn-amd-amdhsa--gfx1030
amdhsa.version:
  - 1
  - 2
...

	.end_amdgpu_metadata
